;; amdgpu-corpus repo=ROCm/rocFFT kind=compiled arch=gfx906 opt=O3
	.text
	.amdgcn_target "amdgcn-amd-amdhsa--gfx906"
	.amdhsa_code_object_version 6
	.protected	fft_rtc_fwd_len200_factors_10_10_2_wgs_60_tpt_20_halfLds_sp_op_CI_CI_unitstride_sbrr_R2C_dirReg ; -- Begin function fft_rtc_fwd_len200_factors_10_10_2_wgs_60_tpt_20_halfLds_sp_op_CI_CI_unitstride_sbrr_R2C_dirReg
	.globl	fft_rtc_fwd_len200_factors_10_10_2_wgs_60_tpt_20_halfLds_sp_op_CI_CI_unitstride_sbrr_R2C_dirReg
	.p2align	8
	.type	fft_rtc_fwd_len200_factors_10_10_2_wgs_60_tpt_20_halfLds_sp_op_CI_CI_unitstride_sbrr_R2C_dirReg,@function
fft_rtc_fwd_len200_factors_10_10_2_wgs_60_tpt_20_halfLds_sp_op_CI_CI_unitstride_sbrr_R2C_dirReg: ; @fft_rtc_fwd_len200_factors_10_10_2_wgs_60_tpt_20_halfLds_sp_op_CI_CI_unitstride_sbrr_R2C_dirReg
; %bb.0:
	v_mul_u32_u24_e32 v1, 0xccd, v0
	s_load_dwordx4 s[8:11], s[4:5], 0x58
	s_load_dwordx4 s[12:15], s[4:5], 0x0
	;; [unrolled: 1-line block ×3, first 2 shown]
	v_lshrrev_b32_e32 v1, 16, v1
	v_mad_u64_u32 v[5:6], s[0:1], s6, 3, v[1:2]
	v_mov_b32_e32 v7, 0
	s_waitcnt lgkmcnt(0)
	v_cmp_lt_u64_e64 s[0:1], s[14:15], 2
	v_mov_b32_e32 v15, 0
	v_mov_b32_e32 v6, v7
	;; [unrolled: 1-line block ×5, first 2 shown]
	s_and_b64 vcc, exec, s[0:1]
	v_mov_b32_e32 v2, v16
	v_mov_b32_e32 v4, v6
	s_cbranch_vccnz .LBB0_8
; %bb.1:
	s_load_dwordx2 s[0:1], s[4:5], 0x10
	s_add_u32 s2, s18, 8
	s_addc_u32 s3, s19, 0
	s_add_u32 s6, s16, 8
	s_addc_u32 s7, s17, 0
	v_mov_b32_e32 v15, 0
	s_waitcnt lgkmcnt(0)
	s_add_u32 s20, s0, 8
	v_mov_b32_e32 v16, 0
	v_mov_b32_e32 v1, v15
	;; [unrolled: 1-line block ×3, first 2 shown]
	s_addc_u32 s21, s1, 0
	s_mov_b64 s[22:23], 1
	v_mov_b32_e32 v2, v16
	v_mov_b32_e32 v9, v5
.LBB0_2:                                ; =>This Inner Loop Header: Depth=1
	s_load_dwordx2 s[24:25], s[20:21], 0x0
                                        ; implicit-def: $vgpr3_vgpr4
	s_waitcnt lgkmcnt(0)
	v_or_b32_e32 v8, s25, v10
	v_cmp_ne_u64_e32 vcc, 0, v[7:8]
	s_and_saveexec_b64 s[0:1], vcc
	s_xor_b64 s[26:27], exec, s[0:1]
	s_cbranch_execz .LBB0_4
; %bb.3:                                ;   in Loop: Header=BB0_2 Depth=1
	v_cvt_f32_u32_e32 v3, s24
	v_cvt_f32_u32_e32 v4, s25
	s_sub_u32 s0, 0, s24
	s_subb_u32 s1, 0, s25
	v_mac_f32_e32 v3, 0x4f800000, v4
	v_rcp_f32_e32 v3, v3
	v_mul_f32_e32 v3, 0x5f7ffffc, v3
	v_mul_f32_e32 v4, 0x2f800000, v3
	v_trunc_f32_e32 v4, v4
	v_mac_f32_e32 v3, 0xcf800000, v4
	v_cvt_u32_f32_e32 v4, v4
	v_cvt_u32_f32_e32 v3, v3
	v_mul_lo_u32 v6, s0, v4
	v_mul_hi_u32 v8, s0, v3
	v_mul_lo_u32 v12, s1, v3
	v_mul_lo_u32 v11, s0, v3
	v_add_u32_e32 v6, v8, v6
	v_add_u32_e32 v6, v6, v12
	v_mul_hi_u32 v8, v3, v11
	v_mul_lo_u32 v12, v3, v6
	v_mul_hi_u32 v14, v3, v6
	v_mul_hi_u32 v13, v4, v11
	v_mul_lo_u32 v11, v4, v11
	v_mul_hi_u32 v17, v4, v6
	v_add_co_u32_e32 v8, vcc, v8, v12
	v_addc_co_u32_e32 v12, vcc, 0, v14, vcc
	v_mul_lo_u32 v6, v4, v6
	v_add_co_u32_e32 v8, vcc, v8, v11
	v_addc_co_u32_e32 v8, vcc, v12, v13, vcc
	v_addc_co_u32_e32 v11, vcc, 0, v17, vcc
	v_add_co_u32_e32 v6, vcc, v8, v6
	v_addc_co_u32_e32 v8, vcc, 0, v11, vcc
	v_add_co_u32_e32 v3, vcc, v3, v6
	v_addc_co_u32_e32 v4, vcc, v4, v8, vcc
	v_mul_lo_u32 v6, s0, v4
	v_mul_hi_u32 v8, s0, v3
	v_mul_lo_u32 v11, s1, v3
	v_mul_lo_u32 v12, s0, v3
	v_add_u32_e32 v6, v8, v6
	v_add_u32_e32 v6, v6, v11
	v_mul_lo_u32 v13, v3, v6
	v_mul_hi_u32 v14, v3, v12
	v_mul_hi_u32 v17, v3, v6
	;; [unrolled: 1-line block ×3, first 2 shown]
	v_mul_lo_u32 v12, v4, v12
	v_mul_hi_u32 v8, v4, v6
	v_add_co_u32_e32 v13, vcc, v14, v13
	v_addc_co_u32_e32 v14, vcc, 0, v17, vcc
	v_mul_lo_u32 v6, v4, v6
	v_add_co_u32_e32 v12, vcc, v13, v12
	v_addc_co_u32_e32 v11, vcc, v14, v11, vcc
	v_addc_co_u32_e32 v8, vcc, 0, v8, vcc
	v_add_co_u32_e32 v6, vcc, v11, v6
	v_addc_co_u32_e32 v8, vcc, 0, v8, vcc
	v_add_co_u32_e32 v6, vcc, v3, v6
	v_addc_co_u32_e32 v8, vcc, v4, v8, vcc
	v_mad_u64_u32 v[3:4], s[0:1], v9, v8, 0
	v_mul_hi_u32 v11, v9, v6
	v_add_co_u32_e32 v13, vcc, v11, v3
	v_addc_co_u32_e32 v14, vcc, 0, v4, vcc
	v_mad_u64_u32 v[3:4], s[0:1], v10, v6, 0
	v_mad_u64_u32 v[11:12], s[0:1], v10, v8, 0
	v_add_co_u32_e32 v3, vcc, v13, v3
	v_addc_co_u32_e32 v3, vcc, v14, v4, vcc
	v_addc_co_u32_e32 v4, vcc, 0, v12, vcc
	v_add_co_u32_e32 v6, vcc, v3, v11
	v_addc_co_u32_e32 v8, vcc, 0, v4, vcc
	v_mul_lo_u32 v11, s25, v6
	v_mul_lo_u32 v12, s24, v8
	v_mad_u64_u32 v[3:4], s[0:1], s24, v6, 0
	v_add3_u32 v4, v4, v12, v11
	v_sub_u32_e32 v11, v10, v4
	v_mov_b32_e32 v12, s25
	v_sub_co_u32_e32 v3, vcc, v9, v3
	v_subb_co_u32_e64 v11, s[0:1], v11, v12, vcc
	v_subrev_co_u32_e64 v12, s[0:1], s24, v3
	v_subbrev_co_u32_e64 v11, s[0:1], 0, v11, s[0:1]
	v_cmp_le_u32_e64 s[0:1], s25, v11
	v_cndmask_b32_e64 v13, 0, -1, s[0:1]
	v_cmp_le_u32_e64 s[0:1], s24, v12
	v_cndmask_b32_e64 v12, 0, -1, s[0:1]
	v_cmp_eq_u32_e64 s[0:1], s25, v11
	v_cndmask_b32_e64 v11, v13, v12, s[0:1]
	v_add_co_u32_e64 v12, s[0:1], 2, v6
	v_addc_co_u32_e64 v13, s[0:1], 0, v8, s[0:1]
	v_add_co_u32_e64 v14, s[0:1], 1, v6
	v_addc_co_u32_e64 v17, s[0:1], 0, v8, s[0:1]
	v_subb_co_u32_e32 v4, vcc, v10, v4, vcc
	v_cmp_ne_u32_e64 s[0:1], 0, v11
	v_cmp_le_u32_e32 vcc, s25, v4
	v_cndmask_b32_e64 v11, v17, v13, s[0:1]
	v_cndmask_b32_e64 v13, 0, -1, vcc
	v_cmp_le_u32_e32 vcc, s24, v3
	v_cndmask_b32_e64 v3, 0, -1, vcc
	v_cmp_eq_u32_e32 vcc, s25, v4
	v_cndmask_b32_e32 v3, v13, v3, vcc
	v_cmp_ne_u32_e32 vcc, 0, v3
	v_cndmask_b32_e64 v3, v14, v12, s[0:1]
	v_cndmask_b32_e32 v4, v8, v11, vcc
	v_cndmask_b32_e32 v3, v6, v3, vcc
.LBB0_4:                                ;   in Loop: Header=BB0_2 Depth=1
	s_andn2_saveexec_b64 s[0:1], s[26:27]
	s_cbranch_execz .LBB0_6
; %bb.5:                                ;   in Loop: Header=BB0_2 Depth=1
	v_cvt_f32_u32_e32 v3, s24
	s_sub_i32 s26, 0, s24
	v_rcp_iflag_f32_e32 v3, v3
	v_mul_f32_e32 v3, 0x4f7ffffe, v3
	v_cvt_u32_f32_e32 v3, v3
	v_mul_lo_u32 v4, s26, v3
	v_mul_hi_u32 v4, v3, v4
	v_add_u32_e32 v3, v3, v4
	v_mul_hi_u32 v3, v9, v3
	v_mul_lo_u32 v4, v3, s24
	v_add_u32_e32 v6, 1, v3
	v_sub_u32_e32 v4, v9, v4
	v_subrev_u32_e32 v8, s24, v4
	v_cmp_le_u32_e32 vcc, s24, v4
	v_cndmask_b32_e32 v4, v4, v8, vcc
	v_cndmask_b32_e32 v3, v3, v6, vcc
	v_add_u32_e32 v6, 1, v3
	v_cmp_le_u32_e32 vcc, s24, v4
	v_cndmask_b32_e32 v3, v3, v6, vcc
	v_mov_b32_e32 v4, v7
.LBB0_6:                                ;   in Loop: Header=BB0_2 Depth=1
	s_or_b64 exec, exec, s[0:1]
	v_mul_lo_u32 v6, v4, s24
	v_mul_lo_u32 v8, v3, s25
	v_mad_u64_u32 v[11:12], s[0:1], v3, s24, 0
	s_load_dwordx2 s[0:1], s[6:7], 0x0
	s_load_dwordx2 s[24:25], s[2:3], 0x0
	v_add3_u32 v6, v12, v8, v6
	v_sub_co_u32_e32 v8, vcc, v9, v11
	v_subb_co_u32_e32 v6, vcc, v10, v6, vcc
	s_waitcnt lgkmcnt(0)
	v_mul_lo_u32 v9, s0, v6
	v_mul_lo_u32 v10, s1, v8
	v_mad_u64_u32 v[15:16], s[0:1], s0, v8, v[15:16]
	s_add_u32 s22, s22, 1
	s_addc_u32 s23, s23, 0
	s_add_u32 s2, s2, 8
	v_mul_lo_u32 v6, s24, v6
	v_mul_lo_u32 v11, s25, v8
	v_mad_u64_u32 v[1:2], s[0:1], s24, v8, v[1:2]
	v_add3_u32 v16, v10, v16, v9
	s_addc_u32 s3, s3, 0
	v_mov_b32_e32 v8, s14
	s_add_u32 s6, s6, 8
	v_mov_b32_e32 v9, s15
	s_addc_u32 s7, s7, 0
	v_cmp_ge_u64_e32 vcc, s[22:23], v[8:9]
	s_add_u32 s20, s20, 8
	v_add3_u32 v2, v11, v2, v6
	s_addc_u32 s21, s21, 0
	s_cbranch_vccnz .LBB0_8
; %bb.7:                                ;   in Loop: Header=BB0_2 Depth=1
	v_mov_b32_e32 v10, v4
	v_mov_b32_e32 v9, v3
	s_branch .LBB0_2
.LBB0_8:
	s_mov_b32 s2, 0xaaaaaaab
	s_load_dwordx2 s[0:1], s[4:5], 0x28
	v_mul_hi_u32 v6, v5, s2
	s_lshl_b64 s[6:7], s[14:15], 3
	s_add_u32 s2, s18, s6
	s_addc_u32 s3, s19, s7
	v_lshrrev_b32_e32 v6, 1, v6
	v_lshl_add_u32 v6, v6, 1, v6
	s_waitcnt lgkmcnt(0)
	v_cmp_gt_u64_e32 vcc, s[0:1], v[3:4]
	v_cmp_le_u64_e64 s[0:1], s[0:1], v[3:4]
	v_sub_u32_e32 v17, v5, v6
                                        ; implicit-def: $vgpr5
                                        ; implicit-def: $vgpr13
                                        ; implicit-def: $vgpr11
                                        ; implicit-def: $vgpr9
                                        ; implicit-def: $vgpr7
	s_and_saveexec_b64 s[4:5], s[0:1]
	s_xor_b64 s[0:1], exec, s[4:5]
	s_cbranch_execz .LBB0_10
; %bb.9:
	s_mov_b32 s4, 0xccccccd
	v_mul_hi_u32 v5, v0, s4
	v_mov_b32_e32 v6, 0
	v_mov_b32_e32 v14, v6
	;; [unrolled: 1-line block ×3, first 2 shown]
	v_mul_u32_u24_e32 v5, 20, v5
	v_sub_u32_e32 v5, v0, v5
	v_add_u32_e32 v13, 20, v5
	v_add_u32_e32 v11, 40, v5
	;; [unrolled: 1-line block ×4, first 2 shown]
	v_mov_b32_e32 v10, v6
	v_mov_b32_e32 v8, v6
                                        ; implicit-def: $vgpr0
                                        ; implicit-def: $vgpr15_vgpr16
.LBB0_10:
	s_or_saveexec_b64 s[4:5], s[0:1]
	v_mul_u32_u24_e32 v17, 0xc9, v17
	v_lshlrev_b32_e32 v19, 3, v17
	s_xor_b64 exec, exec, s[4:5]
	s_cbranch_execz .LBB0_12
; %bb.11:
	s_add_u32 s0, s16, s6
	s_addc_u32 s1, s17, s7
	s_load_dwordx2 s[0:1], s[0:1], 0x0
	s_mov_b32 s6, 0xccccccd
	v_mul_hi_u32 v5, v0, s6
	s_waitcnt lgkmcnt(0)
	v_mul_lo_u32 v8, s1, v3
	v_mul_lo_u32 v9, s0, v4
	v_mad_u64_u32 v[6:7], s[0:1], s0, v3, 0
	v_mul_u32_u24_e32 v5, 20, v5
	v_sub_u32_e32 v5, v0, v5
	v_add3_u32 v7, v7, v9, v8
	v_lshlrev_b64 v[6:7], 3, v[6:7]
	v_mov_b32_e32 v0, s9
	v_add_co_u32_e64 v8, s[0:1], s8, v6
	v_addc_co_u32_e64 v0, s[0:1], v0, v7, s[0:1]
	v_lshlrev_b64 v[6:7], 3, v[15:16]
	v_lshlrev_b32_e32 v36, 3, v5
	v_add_co_u32_e64 v6, s[0:1], v8, v6
	v_addc_co_u32_e64 v0, s[0:1], v0, v7, s[0:1]
	v_add_co_u32_e64 v6, s[0:1], v6, v36
	v_addc_co_u32_e64 v7, s[0:1], 0, v0, s[0:1]
	global_load_dwordx2 v[15:16], v[6:7], off
	global_load_dwordx2 v[17:18], v[6:7], off offset:160
	global_load_dwordx2 v[20:21], v[6:7], off offset:320
	;; [unrolled: 1-line block ×9, first 2 shown]
	v_mov_b32_e32 v6, 0
	v_mov_b32_e32 v14, v6
	v_mov_b32_e32 v12, v6
	v_mov_b32_e32 v10, v6
	v_mov_b32_e32 v8, v6
	v_add_u32_e32 v13, 20, v5
	v_add_u32_e32 v11, 40, v5
	v_add_u32_e32 v9, 60, v5
	v_add_u32_e32 v7, 0x50, v5
	v_add3_u32 v0, 0, v19, v36
	s_waitcnt vmcnt(8)
	ds_write2_b64 v0, v[15:16], v[17:18] offset1:20
	s_waitcnt vmcnt(6)
	ds_write2_b64 v0, v[20:21], v[22:23] offset0:40 offset1:60
	s_waitcnt vmcnt(4)
	ds_write2_b64 v0, v[24:25], v[26:27] offset0:80 offset1:100
	;; [unrolled: 2-line block ×4, first 2 shown]
.LBB0_12:
	s_or_b64 exec, exec, s[4:5]
	v_lshlrev_b32_e32 v17, 3, v5
	v_add3_u32 v18, 0, v17, v19
	s_load_dwordx2 s[2:3], s[2:3], 0x0
	s_waitcnt lgkmcnt(0)
	; wave barrier
	s_waitcnt lgkmcnt(0)
	ds_read2_b64 v[22:25], v18 offset0:100 offset1:120
	ds_read2_b64 v[26:29], v18 offset0:140 offset1:160
	;; [unrolled: 1-line block ×4, first 2 shown]
	ds_read_b64 v[15:16], v18 offset:1440
	s_movk_i32 s0, 0x48
	s_waitcnt lgkmcnt(3)
	v_add_f32_e32 v0, v22, v26
	s_waitcnt lgkmcnt(2)
	v_fma_f32 v20, -0.5, v0, v30
	v_add_u32_e32 v0, 0, v19
	v_add_u32_e32 v21, v0, v17
	ds_read_b64 v[38:39], v21
	s_waitcnt lgkmcnt(1)
	v_add_f32_e32 v40, v34, v15
	v_fma_f32 v40, -0.5, v40, v30
	v_add_f32_e32 v41, v23, v27
	v_add_f32_e32 v42, v35, v16
	s_waitcnt lgkmcnt(0)
	v_add_f32_e32 v43, v38, v32
	v_add_f32_e32 v30, v30, v34
	v_fma_f32 v41, -0.5, v41, v31
	v_fma_f32 v42, -0.5, v42, v31
	v_add_f32_e32 v48, v39, v33
	v_add_f32_e32 v31, v31, v35
	;; [unrolled: 1-line block ×5, first 2 shown]
	v_sub_f32_e32 v54, v34, v22
	v_sub_f32_e32 v55, v22, v34
	v_add_f32_e32 v43, v43, v24
	v_add_f32_e32 v31, v31, v23
	v_sub_f32_e32 v60, v22, v26
	v_add_f32_e32 v22, v30, v26
	v_sub_f32_e32 v44, v33, v29
	v_sub_f32_e32 v45, v32, v36
	v_add_f32_e32 v46, v32, v28
	v_sub_f32_e32 v47, v36, v32
	v_sub_f32_e32 v32, v32, v28
	;; [unrolled: 1-line block ×3, first 2 shown]
	v_add_f32_e32 v50, v33, v29
	v_sub_f32_e32 v33, v37, v33
	v_add_f32_e32 v51, v36, v24
	v_sub_f32_e32 v52, v37, v25
	;; [unrolled: 2-line block ×3, first 2 shown]
	v_sub_f32_e32 v53, v35, v16
	v_sub_f32_e32 v34, v34, v15
	;; [unrolled: 1-line block ×4, first 2 shown]
	v_add_f32_e32 v48, v48, v25
	v_sub_f32_e32 v57, v28, v24
	v_sub_f32_e32 v24, v24, v28
	;; [unrolled: 1-line block ×3, first 2 shown]
	v_add_f32_e32 v28, v43, v28
	v_add_f32_e32 v23, v31, v27
	v_sub_f32_e32 v30, v15, v26
	v_sub_f32_e32 v26, v26, v15
	v_add_f32_e32 v43, v22, v15
	v_mov_b32_e32 v15, v20
	v_sub_f32_e32 v58, v29, v25
	v_sub_f32_e32 v25, v25, v29
	v_add_f32_e32 v29, v48, v29
	v_sub_f32_e32 v31, v16, v27
	v_sub_f32_e32 v27, v27, v16
	v_add_f32_e32 v48, v23, v16
	v_fmac_f32_e32 v15, 0x3f737871, v53
	v_mov_b32_e32 v16, v41
	v_fma_f32 v51, -0.5, v51, v38
	v_fma_f32 v37, -0.5, v37, v39
	v_add_f32_e32 v45, v45, v57
	v_add_f32_e32 v49, v49, v58
	;; [unrolled: 1-line block ×3, first 2 shown]
	v_fmac_f32_e32 v15, 0x3f167918, v59
	v_fmac_f32_e32 v16, 0xbf737871, v34
	v_mov_b32_e32 v57, v51
	v_mov_b32_e32 v58, v37
	v_add_f32_e32 v31, v56, v31
	v_fmac_f32_e32 v15, 0x3e9e377a, v30
	v_fmac_f32_e32 v16, 0xbf167918, v60
	;; [unrolled: 1-line block ×5, first 2 shown]
	v_mul_f32_e32 v54, 0x3f4f1bbd, v15
	v_mul_f32_e32 v56, 0xbf167918, v15
	v_fmac_f32_e32 v57, 0x3f167918, v52
	v_fmac_f32_e32 v58, 0xbf167918, v36
	;; [unrolled: 1-line block ×6, first 2 shown]
	v_add_f32_e32 v15, v28, v43
	v_add_f32_e32 v16, v29, v48
	;; [unrolled: 1-line block ×4, first 2 shown]
	v_mad_u32_u24 v61, v5, s0, v18
	s_waitcnt lgkmcnt(0)
	; wave barrier
	ds_write2_b64 v61, v[15:16], v[22:23] offset1:1
	v_add_f32_e32 v15, v47, v24
	v_fma_f32 v24, -0.5, v46, v38
	v_mov_b32_e32 v38, v24
	v_fmac_f32_e32 v38, 0xbf737871, v52
	v_fmac_f32_e32 v24, 0x3f737871, v52
	;; [unrolled: 1-line block ×4, first 2 shown]
	v_fmac_f32_e32 v39, -0.5, v50
	v_fmac_f32_e32 v38, 0x3e9e377a, v15
	v_fmac_f32_e32 v24, 0x3e9e377a, v15
	v_add_f32_e32 v15, v33, v25
	v_mov_b32_e32 v25, v39
	v_fmac_f32_e32 v25, 0x3f737871, v36
	v_fmac_f32_e32 v39, 0xbf737871, v36
	v_mov_b32_e32 v16, v40
	v_fmac_f32_e32 v25, 0xbf167918, v32
	v_fmac_f32_e32 v39, 0x3f167918, v32
	;; [unrolled: 1-line block ×4, first 2 shown]
	v_mov_b32_e32 v22, v42
	v_fmac_f32_e32 v25, 0x3e9e377a, v15
	v_fmac_f32_e32 v39, 0x3e9e377a, v15
	v_add_f32_e32 v15, v55, v26
	v_fmac_f32_e32 v16, 0x3f167918, v53
	v_fmac_f32_e32 v40, 0xbf167918, v53
	;; [unrolled: 1-line block ×6, first 2 shown]
	v_add_f32_e32 v15, v35, v27
	v_fmac_f32_e32 v22, 0xbf167918, v34
	v_fmac_f32_e32 v42, 0x3f167918, v34
	;; [unrolled: 1-line block ×4, first 2 shown]
	s_mov_b32 s5, 0x3f737871
	v_mul_f32_e32 v15, 0x3e9e377a, v40
	v_mul_f32_e32 v26, 0x3f737871, v22
	;; [unrolled: 1-line block ×3, first 2 shown]
	s_mov_b32 s4, 0xbf737871
	v_fma_f32 v33, v42, s5, -v15
	v_mul_f32_e32 v15, 0x3e9e377a, v42
	v_fmac_f32_e32 v20, 0xbf737871, v53
	v_fmac_f32_e32 v26, 0x3e9e377a, v16
	v_fmac_f32_e32 v27, 0x3e9e377a, v22
	v_fma_f32 v35, v40, s4, -v15
	v_fmac_f32_e32 v20, 0xbf167918, v59
	v_fmac_f32_e32 v41, 0x3f737871, v34
	v_add_f32_e32 v15, v38, v26
	v_add_f32_e32 v16, v25, v27
	;; [unrolled: 1-line block ×4, first 2 shown]
	v_fmac_f32_e32 v20, 0x3e9e377a, v30
	v_fmac_f32_e32 v41, 0x3f167918, v60
	ds_write2_b64 v61, v[15:16], v[22:23] offset0:2 offset1:3
	v_fmac_f32_e32 v51, 0xbf737871, v44
	v_fmac_f32_e32 v37, 0x3f737871, v32
	;; [unrolled: 1-line block ×3, first 2 shown]
	s_mov_b32 s7, 0x3f167918
	v_mul_f32_e32 v22, 0x3f4f1bbd, v20
	v_sub_f32_e32 v15, v28, v43
	v_fmac_f32_e32 v51, 0xbf167918, v52
	v_fmac_f32_e32 v37, 0x3f167918, v36
	s_mov_b32 s6, 0xbf167918
	v_fma_f32 v28, v41, s7, -v22
	v_mul_f32_e32 v22, 0x3f4f1bbd, v41
	v_fmac_f32_e32 v51, 0x3e9e377a, v45
	v_fmac_f32_e32 v37, 0x3e9e377a, v49
	v_fma_f32 v20, v20, s6, -v22
	v_sub_f32_e32 v16, v29, v48
	v_add_f32_e32 v22, v51, v28
	v_add_f32_e32 v23, v37, v20
	ds_write2_b64 v61, v[22:23], v[15:16] offset0:4 offset1:5
	v_sub_f32_e32 v15, v24, v33
	v_sub_f32_e32 v22, v57, v54
	;; [unrolled: 1-line block ×8, first 2 shown]
	ds_write2_b64 v61, v[22:23], v[24:25] offset0:6 offset1:7
	ds_write2_b64 v61, v[15:16], v[26:27] offset0:8 offset1:9
	v_add_u32_e32 v15, -10, v5
	v_cmp_gt_u32_e64 s[0:1], 10, v5
	v_cndmask_b32_e64 v48, v15, v5, s[0:1]
	v_mul_i32_i24_e32 v15, 9, v48
	v_mov_b32_e32 v16, 0
	v_lshlrev_b64 v[15:16], 3, v[15:16]
	v_mov_b32_e32 v20, s13
	v_add_co_u32_e64 v15, s[0:1], s12, v15
	v_addc_co_u32_e64 v16, s[0:1], v20, v16, s[0:1]
	s_waitcnt lgkmcnt(0)
	; wave barrier
	s_waitcnt lgkmcnt(0)
	global_load_dwordx4 v[22:25], v[15:16], off offset:32
	global_load_dwordx4 v[26:29], v[15:16], off offset:48
	global_load_dwordx4 v[30:33], v[15:16], off
	global_load_dwordx4 v[34:37], v[15:16], off offset:16
	global_load_dwordx2 v[46:47], v[15:16], off offset:64
	ds_read2_b64 v[38:41], v18 offset0:100 offset1:120
	ds_read2_b64 v[42:45], v18 offset0:140 offset1:160
	v_cmp_lt_u32_e64 s[0:1], 9, v5
	s_waitcnt vmcnt(4) lgkmcnt(1)
	v_mul_f32_e32 v15, v23, v39
	v_fma_f32 v49, v22, v38, -v15
	v_mul_f32_e32 v38, v23, v38
	v_mul_f32_e32 v15, v41, v25
	v_fmac_f32_e32 v38, v22, v39
	v_fma_f32 v39, v40, v24, -v15
	v_mul_f32_e32 v40, v40, v25
	s_waitcnt vmcnt(3) lgkmcnt(0)
	v_mul_f32_e32 v15, v43, v27
	v_fmac_f32_e32 v40, v41, v24
	v_fma_f32 v41, v42, v26, -v15
	v_mul_f32_e32 v42, v42, v27
	v_mul_f32_e32 v15, v45, v29
	v_lshl_add_u32 v25, v13, 3, v0
	v_fmac_f32_e32 v42, v43, v26
	v_fma_f32 v43, v44, v28, -v15
	ds_read_b64 v[15:16], v25
	v_mul_f32_e32 v44, v44, v29
	v_lshl_add_u32 v24, v11, 3, v0
	v_fmac_f32_e32 v44, v45, v28
	ds_read_b64 v[26:27], v24
	ds_read_b64 v[28:29], v18 offset:1440
	s_waitcnt vmcnt(2) lgkmcnt(2)
	v_mul_f32_e32 v22, v31, v16
	v_fma_f32 v45, v30, v15, -v22
	v_mul_f32_e32 v31, v31, v15
	s_waitcnt lgkmcnt(1)
	v_mul_f32_e32 v15, v33, v27
	v_lshl_add_u32 v23, v9, 3, v0
	v_fmac_f32_e32 v31, v30, v16
	v_fma_f32 v30, v32, v26, -v15
	ds_read_b64 v[15:16], v23
	v_mul_f32_e32 v33, v33, v26
	v_lshl_add_u32 v22, v7, 3, v0
	v_fmac_f32_e32 v33, v32, v27
	ds_read_b64 v[26:27], v22
	s_waitcnt vmcnt(1) lgkmcnt(1)
	v_mul_f32_e32 v32, v35, v16
	v_fma_f32 v32, v34, v15, -v32
	v_mul_f32_e32 v35, v35, v15
	v_fmac_f32_e32 v35, v34, v16
	s_waitcnt lgkmcnt(0)
	v_mul_f32_e32 v15, v37, v27
	v_fma_f32 v34, v36, v26, -v15
	v_mul_f32_e32 v37, v37, v26
	s_waitcnt vmcnt(0)
	v_mul_f32_e32 v26, v29, v47
	v_fmac_f32_e32 v37, v36, v27
	v_fma_f32 v36, v28, v46, -v26
	v_mov_b32_e32 v26, 0x320
	v_cndmask_b32_e64 v26, 0, v26, s[0:1]
	v_add_u32_e32 v26, 0, v26
	v_lshlrev_b32_e32 v27, 3, v48
	v_mul_f32_e32 v47, v28, v47
	v_add3_u32 v19, v26, v27, v19
	v_sub_f32_e32 v26, v30, v34
	v_sub_f32_e32 v27, v43, v39
	v_fmac_f32_e32 v47, v29, v46
	v_add_f32_e32 v46, v26, v27
	v_sub_f32_e32 v26, v33, v37
	v_sub_f32_e32 v27, v44, v40
	v_add_f32_e32 v48, v26, v27
	v_sub_f32_e32 v26, v32, v49
	v_sub_f32_e32 v27, v36, v41
	;; [unrolled: 3-line block ×3, first 2 shown]
	v_add_f32_e32 v51, v26, v27
	v_add_f32_e32 v27, v38, v42
	;; [unrolled: 1-line block ×3, first 2 shown]
	v_fma_f32 v55, -0.5, v27, v31
	ds_read_b64 v[15:16], v21
	v_fma_f32 v52, -0.5, v26, v45
	v_sub_f32_e32 v56, v32, v36
	v_mov_b32_e32 v27, v55
	v_sub_f32_e32 v53, v35, v47
	v_mov_b32_e32 v26, v52
	v_fmac_f32_e32 v27, 0xbf737871, v56
	v_sub_f32_e32 v57, v49, v41
	v_fmac_f32_e32 v26, 0x3f737871, v53
	v_sub_f32_e32 v54, v38, v42
	v_fmac_f32_e32 v27, 0xbf167918, v57
	v_fmac_f32_e32 v26, 0x3f167918, v54
	;; [unrolled: 1-line block ×4, first 2 shown]
	v_mul_f32_e32 v58, 0x3f167918, v27
	v_fmac_f32_e32 v58, 0x3f4f1bbd, v26
	v_mul_f32_e32 v59, 0xbf167918, v26
	s_waitcnt lgkmcnt(0)
	v_add_f32_e32 v26, v15, v30
	v_add_f32_e32 v26, v26, v34
	;; [unrolled: 1-line block ×5, first 2 shown]
	v_fma_f32 v61, -0.5, v26, v15
	v_add_f32_e32 v26, v16, v33
	v_add_f32_e32 v26, v26, v37
	;; [unrolled: 1-line block ×5, first 2 shown]
	v_fma_f32 v66, -0.5, v26, v16
	v_add_f32_e32 v26, v45, v32
	v_add_f32_e32 v26, v26, v49
	v_add_f32_e32 v26, v26, v41
	v_sub_f32_e32 v62, v33, v44
	v_mov_b32_e32 v63, v61
	v_sub_f32_e32 v67, v30, v43
	v_mov_b32_e32 v68, v66
	v_add_f32_e32 v70, v26, v36
	v_add_f32_e32 v26, v31, v35
	v_fmac_f32_e32 v63, 0x3f737871, v62
	v_sub_f32_e32 v64, v37, v40
	v_fmac_f32_e32 v68, 0xbf737871, v67
	v_sub_f32_e32 v69, v34, v39
	v_add_f32_e32 v26, v26, v38
	v_fmac_f32_e32 v63, 0x3f167918, v64
	v_fmac_f32_e32 v68, 0xbf167918, v69
	v_add_f32_e32 v26, v26, v42
	v_fmac_f32_e32 v59, 0x3f4f1bbd, v27
	v_fmac_f32_e32 v63, 0x3e9e377a, v46
	;; [unrolled: 1-line block ×3, first 2 shown]
	v_add_f32_e32 v71, v26, v47
	v_add_f32_e32 v26, v60, v70
	v_add_f32_e32 v27, v65, v71
	v_add_f32_e32 v28, v63, v58
	v_add_f32_e32 v29, v68, v59
	s_waitcnt lgkmcnt(0)
	; wave barrier
	ds_write2_b64 v19, v[26:27], v[28:29] offset1:10
	v_add_f32_e32 v27, v30, v43
	v_fma_f32 v15, -0.5, v27, v15
	v_sub_f32_e32 v26, v34, v30
	v_mov_b32_e32 v30, v15
	v_sub_f32_e32 v28, v39, v43
	v_fmac_f32_e32 v30, 0xbf737871, v64
	v_fmac_f32_e32 v15, 0x3f737871, v64
	v_add_f32_e32 v26, v26, v28
	v_fmac_f32_e32 v30, 0x3f167918, v62
	v_fmac_f32_e32 v15, 0xbf167918, v62
	;; [unrolled: 1-line block ×4, first 2 shown]
	v_add_f32_e32 v26, v33, v44
	v_fmac_f32_e32 v16, -0.5, v26
	v_sub_f32_e32 v26, v37, v33
	v_mov_b32_e32 v33, v16
	v_sub_f32_e32 v27, v40, v44
	v_fmac_f32_e32 v33, 0x3f737871, v69
	v_fmac_f32_e32 v16, 0xbf737871, v69
	v_add_f32_e32 v26, v26, v27
	v_fmac_f32_e32 v33, 0xbf167918, v67
	v_fmac_f32_e32 v16, 0x3f167918, v67
	;; [unrolled: 1-line block ×4, first 2 shown]
	v_add_f32_e32 v26, v32, v36
	v_fmac_f32_e32 v45, -0.5, v26
	v_sub_f32_e32 v26, v49, v32
	v_sub_f32_e32 v27, v41, v36
	v_add_f32_e32 v26, v26, v27
	v_mov_b32_e32 v27, v45
	v_fmac_f32_e32 v27, 0xbf737871, v54
	v_fmac_f32_e32 v45, 0x3f737871, v54
	v_fmac_f32_e32 v27, 0x3f167918, v53
	v_fmac_f32_e32 v45, 0xbf167918, v53
	v_fmac_f32_e32 v27, 0x3e9e377a, v26
	v_fmac_f32_e32 v45, 0x3e9e377a, v26
	v_add_f32_e32 v26, v35, v47
	v_fmac_f32_e32 v31, -0.5, v26
	v_sub_f32_e32 v26, v38, v35
	v_sub_f32_e32 v28, v42, v47
	v_add_f32_e32 v26, v26, v28
	v_mov_b32_e32 v28, v31
	v_fmac_f32_e32 v28, 0x3f737871, v57
	v_fmac_f32_e32 v31, 0xbf737871, v57
	;; [unrolled: 1-line block ×6, first 2 shown]
	v_mul_f32_e32 v26, 0x3e9e377a, v45
	v_mul_f32_e32 v32, 0x3f737871, v28
	;; [unrolled: 1-line block ×3, first 2 shown]
	v_fma_f32 v35, v31, s5, -v26
	v_mul_f32_e32 v26, 0x3e9e377a, v31
	v_fmac_f32_e32 v52, 0xbf737871, v53
	v_fmac_f32_e32 v32, 0x3e9e377a, v27
	;; [unrolled: 1-line block ×3, first 2 shown]
	v_fma_f32 v31, v45, s4, -v26
	v_fmac_f32_e32 v52, 0xbf167918, v54
	v_fmac_f32_e32 v55, 0x3f737871, v56
	v_add_f32_e32 v26, v30, v32
	v_add_f32_e32 v27, v33, v34
	;; [unrolled: 1-line block ×4, first 2 shown]
	v_fmac_f32_e32 v52, 0x3e9e377a, v50
	v_fmac_f32_e32 v55, 0x3f167918, v57
	ds_write2_b64 v19, v[26:27], v[28:29] offset0:20 offset1:30
	v_fmac_f32_e32 v61, 0xbf737871, v62
	v_fmac_f32_e32 v66, 0x3f737871, v67
	;; [unrolled: 1-line block ×3, first 2 shown]
	v_mul_f32_e32 v28, 0x3f4f1bbd, v52
	v_fmac_f32_e32 v61, 0xbf167918, v64
	v_fmac_f32_e32 v66, 0x3f167918, v69
	v_fma_f32 v36, v55, s7, -v28
	v_mul_f32_e32 v28, 0x3f4f1bbd, v55
	v_fmac_f32_e32 v61, 0x3e9e377a, v46
	v_fmac_f32_e32 v66, 0x3e9e377a, v48
	v_fma_f32 v37, v52, s6, -v28
	v_sub_f32_e32 v26, v60, v70
	v_sub_f32_e32 v27, v65, v71
	v_add_f32_e32 v28, v61, v36
	v_add_f32_e32 v29, v66, v37
	ds_write2_b64 v19, v[28:29], v[26:27] offset0:40 offset1:50
	v_sub_f32_e32 v26, v63, v58
	v_sub_f32_e32 v27, v68, v59
	;; [unrolled: 1-line block ×4, first 2 shown]
	ds_write2_b64 v19, v[26:27], v[28:29] offset0:60 offset1:70
	v_sub_f32_e32 v16, v16, v31
	v_sub_f32_e32 v15, v15, v35
	v_sub_f32_e32 v26, v61, v36
	v_sub_f32_e32 v27, v66, v37
	ds_write2_b64 v19, v[15:16], v[26:27] offset0:80 offset1:90
	v_lshlrev_b64 v[15:16], 3, v[5:6]
	s_waitcnt lgkmcnt(0)
	v_add_co_u32_e64 v15, s[0:1], s12, v15
	v_addc_co_u32_e64 v16, s[0:1], v20, v16, s[0:1]
	; wave barrier
	v_lshlrev_b64 v[13:14], 3, v[13:14]
	global_load_dwordx2 v[30:31], v[15:16], off offset:720
	v_add_co_u32_e64 v13, s[0:1], s12, v13
	v_lshlrev_b64 v[11:12], 3, v[11:12]
	v_addc_co_u32_e64 v14, s[0:1], v20, v14, s[0:1]
	v_add_co_u32_e64 v11, s[0:1], s12, v11
	v_lshlrev_b64 v[9:10], 3, v[9:10]
	global_load_dwordx2 v[34:35], v[13:14], off offset:720
	v_addc_co_u32_e64 v12, s[0:1], v20, v12, s[0:1]
	global_load_dwordx2 v[36:37], v[11:12], off offset:720
	v_add_co_u32_e64 v9, s[0:1], s12, v9
	v_addc_co_u32_e64 v10, s[0:1], v20, v10, s[0:1]
	global_load_dwordx2 v[38:39], v[9:10], off offset:720
	v_lshlrev_b64 v[6:7], 3, v[7:8]
	ds_read2_b64 v[26:29], v18 offset0:100 offset1:120
	v_add_co_u32_e64 v6, s[0:1], s12, v6
	v_addc_co_u32_e64 v7, s[0:1], v20, v7, s[0:1]
	global_load_dwordx2 v[19:20], v[6:7], off offset:720
	v_cmp_ne_u32_e64 s[0:1], 0, v5
	s_waitcnt vmcnt(4) lgkmcnt(0)
	v_mul_f32_e32 v8, v31, v27
	v_mul_f32_e32 v40, v31, v26
	v_fma_f32 v8, v30, v26, -v8
	v_fmac_f32_e32 v40, v30, v27
	ds_read2_b64 v[30:33], v18 offset0:140 offset1:160
	s_waitcnt vmcnt(3)
	v_mul_f32_e32 v26, v35, v29
	v_fma_f32 v41, v34, v28, -v26
	v_mul_f32_e32 v42, v35, v28
	s_waitcnt vmcnt(2) lgkmcnt(0)
	v_mul_f32_e32 v26, v37, v31
	v_fma_f32 v43, v36, v30, -v26
	ds_read_b64 v[26:27], v21
	v_mul_f32_e32 v44, v37, v30
	v_fmac_f32_e32 v42, v34, v29
	s_waitcnt vmcnt(1)
	v_mul_f32_e32 v28, v39, v33
	v_mul_f32_e32 v46, v39, v32
	v_fmac_f32_e32 v44, v36, v31
	v_fma_f32 v45, v38, v32, -v28
	v_fmac_f32_e32 v46, v38, v33
	ds_read_b64 v[30:31], v23
	ds_read_b64 v[32:33], v24
	;; [unrolled: 1-line block ×3, first 2 shown]
	ds_read_b64 v[36:37], v18 offset:1440
	ds_read_b64 v[38:39], v22
	s_waitcnt lgkmcnt(5)
	v_sub_f32_e32 v28, v26, v8
	v_sub_f32_e32 v29, v27, v40
	v_fma_f32 v26, v26, 2.0, -v28
	v_fma_f32 v27, v27, 2.0, -v29
	s_waitcnt vmcnt(0) lgkmcnt(1)
	v_mul_f32_e32 v8, v20, v37
	v_mul_f32_e32 v20, v20, v36
	s_waitcnt lgkmcnt(0)
	; wave barrier
	s_waitcnt lgkmcnt(0)
	ds_write2_b64 v18, v[26:27], v[28:29] offset1:100
	v_fma_f32 v8, v19, v36, -v8
	v_fmac_f32_e32 v20, v19, v37
	v_sub_f32_e32 v18, v34, v41
	v_sub_f32_e32 v19, v35, v42
	v_fma_f32 v26, v34, 2.0, -v18
	v_fma_f32 v27, v35, 2.0, -v19
	ds_write2_b64 v25, v[26:27], v[18:19] offset1:100
	v_sub_f32_e32 v18, v32, v43
	v_sub_f32_e32 v19, v33, v44
	v_fma_f32 v26, v32, 2.0, -v18
	v_fma_f32 v27, v33, 2.0, -v19
	ds_write2_b64 v24, v[26:27], v[18:19] offset1:100
	;; [unrolled: 5-line block ×4, first 2 shown]
	s_waitcnt lgkmcnt(0)
	; wave barrier
	s_waitcnt lgkmcnt(0)
	ds_read_b64 v[19:20], v21
	v_sub_u32_e32 v8, v0, v17
                                        ; implicit-def: $vgpr17
                                        ; implicit-def: $vgpr26
                                        ; implicit-def: $vgpr27
	s_and_saveexec_b64 s[4:5], s[0:1]
	s_xor_b64 s[0:1], exec, s[4:5]
	s_cbranch_execz .LBB0_14
; %bb.13:
	global_load_dwordx2 v[15:16], v[15:16], off offset:1520
	ds_read_b64 v[17:18], v8 offset:1600
	s_waitcnt lgkmcnt(0)
	v_add_f32_e32 v28, v17, v19
	v_sub_f32_e32 v17, v19, v17
	v_add_f32_e32 v26, v18, v20
	v_sub_f32_e32 v18, v20, v18
	v_mul_f32_e32 v20, 0.5, v17
	v_mul_f32_e32 v19, 0.5, v26
	;; [unrolled: 1-line block ×3, first 2 shown]
	s_waitcnt vmcnt(0)
	v_mul_f32_e32 v18, v16, v20
	v_fma_f32 v27, v19, v16, v17
	v_fma_f32 v16, v19, v16, -v17
	v_fma_f32 v26, 0.5, v28, v18
	v_fma_f32 v17, v28, 0.5, -v18
	v_fma_f32 v27, -v15, v20, v27
	v_fmac_f32_e32 v26, v15, v19
	v_fma_f32 v17, -v15, v19, v17
	v_fma_f32 v18, -v15, v20, v16
                                        ; implicit-def: $vgpr19_vgpr20
.LBB0_14:
	s_andn2_saveexec_b64 s[0:1], s[0:1]
	s_cbranch_execz .LBB0_16
; %bb.15:
	ds_read_b32 v15, v0 offset:804
	s_waitcnt lgkmcnt(1)
	v_add_f32_e32 v26, v19, v20
	v_sub_f32_e32 v17, v19, v20
	v_mov_b32_e32 v27, 0
	v_mov_b32_e32 v18, 0
	s_waitcnt lgkmcnt(0)
	v_xor_b32_e32 v15, 0x80000000, v15
	ds_write_b32 v0, v15 offset:804
.LBB0_16:
	s_or_b64 exec, exec, s[0:1]
	global_load_dwordx2 v[15:16], v[13:14], off offset:1520
	s_waitcnt lgkmcnt(0)
	global_load_dwordx2 v[19:20], v[11:12], off offset:1520
	global_load_dwordx2 v[28:29], v[9:10], off offset:1520
	ds_write2_b32 v21, v26, v27 offset1:1
	ds_write_b64 v8, v[17:18] offset:1600
	ds_read_b64 v[9:10], v25
	ds_read_b64 v[11:12], v8 offset:1440
	global_load_dwordx2 v[6:7], v[6:7], off offset:1520
	s_waitcnt lgkmcnt(0)
	v_add_f32_e32 v13, v9, v11
	v_sub_f32_e32 v9, v9, v11
	v_add_f32_e32 v14, v10, v12
	v_sub_f32_e32 v10, v10, v12
	v_mul_f32_e32 v9, 0.5, v9
	v_mul_f32_e32 v11, 0.5, v14
	;; [unrolled: 1-line block ×3, first 2 shown]
	s_waitcnt vmcnt(3)
	v_mul_f32_e32 v12, v16, v9
	v_fma_f32 v14, v11, v16, v10
	v_fma_f32 v10, v11, v16, -v10
	v_fma_f32 v16, 0.5, v13, v12
	v_fma_f32 v14, -v15, v9, v14
	v_fma_f32 v12, v13, 0.5, -v12
	v_fmac_f32_e32 v16, v15, v11
	v_fma_f32 v10, -v15, v9, v10
	v_fma_f32 v9, -v15, v11, v12
	ds_write2_b32 v25, v16, v14 offset1:1
	ds_write_b64 v8, v[9:10] offset:1440
	ds_read_b64 v[9:10], v24
	ds_read_b64 v[11:12], v8 offset:1280
	s_waitcnt lgkmcnt(0)
	v_add_f32_e32 v13, v9, v11
	v_sub_f32_e32 v9, v9, v11
	v_add_f32_e32 v14, v10, v12
	v_sub_f32_e32 v10, v10, v12
	v_mul_f32_e32 v9, 0.5, v9
	v_mul_f32_e32 v11, 0.5, v14
	;; [unrolled: 1-line block ×3, first 2 shown]
	s_waitcnt vmcnt(2)
	v_mul_f32_e32 v12, v20, v9
	v_fma_f32 v14, v11, v20, v10
	v_fma_f32 v15, 0.5, v13, v12
	v_fma_f32 v10, v11, v20, -v10
	v_fma_f32 v14, -v19, v9, v14
	v_fma_f32 v12, v13, 0.5, -v12
	v_fmac_f32_e32 v15, v19, v11
	v_fma_f32 v10, -v19, v9, v10
	v_fma_f32 v9, -v19, v11, v12
	ds_write2_b32 v24, v15, v14 offset1:1
	ds_write_b64 v8, v[9:10] offset:1280
	ds_read_b64 v[9:10], v23
	ds_read_b64 v[11:12], v8 offset:1120
	s_waitcnt lgkmcnt(0)
	v_add_f32_e32 v13, v9, v11
	v_sub_f32_e32 v9, v9, v11
	v_add_f32_e32 v14, v10, v12
	v_sub_f32_e32 v10, v10, v12
	v_mul_f32_e32 v9, 0.5, v9
	v_mul_f32_e32 v11, 0.5, v14
	;; [unrolled: 1-line block ×3, first 2 shown]
	s_waitcnt vmcnt(1)
	v_mul_f32_e32 v12, v29, v9
	v_fma_f32 v14, v11, v29, v10
	v_fma_f32 v15, 0.5, v13, v12
	v_fma_f32 v10, v11, v29, -v10
	v_fma_f32 v14, -v28, v9, v14
	v_fma_f32 v12, v13, 0.5, -v12
	v_fmac_f32_e32 v15, v28, v11
	v_fma_f32 v10, -v28, v9, v10
	v_fma_f32 v9, -v28, v11, v12
	ds_write2_b32 v23, v15, v14 offset1:1
	ds_write_b64 v8, v[9:10] offset:1120
	ds_read_b64 v[9:10], v22
	ds_read_b64 v[11:12], v8 offset:960
	s_waitcnt lgkmcnt(0)
	v_add_f32_e32 v13, v9, v11
	v_sub_f32_e32 v9, v9, v11
	v_add_f32_e32 v14, v10, v12
	v_sub_f32_e32 v10, v10, v12
	v_mul_f32_e32 v9, 0.5, v9
	v_mul_f32_e32 v11, 0.5, v14
	v_mul_f32_e32 v10, 0.5, v10
	s_waitcnt vmcnt(0)
	v_mul_f32_e32 v12, v7, v9
	v_fma_f32 v14, v11, v7, v10
	v_fma_f32 v7, v11, v7, -v10
	v_fma_f32 v10, 0.5, v13, v12
	v_fma_f32 v14, -v6, v9, v14
	v_fma_f32 v12, v13, 0.5, -v12
	v_fmac_f32_e32 v10, v6, v11
	v_fma_f32 v7, -v6, v9, v7
	v_fma_f32 v6, -v6, v11, v12
	ds_write2_b32 v22, v10, v14 offset1:1
	ds_write_b64 v8, v[6:7] offset:960
	s_waitcnt lgkmcnt(0)
	; wave barrier
	s_waitcnt lgkmcnt(0)
	s_and_saveexec_b64 s[0:1], vcc
	s_cbranch_execz .LBB0_19
; %bb.17:
	v_mul_lo_u32 v6, s3, v3
	v_mul_lo_u32 v4, s2, v4
	v_mad_u64_u32 v[11:12], s[0:1], s2, v3, 0
	v_lshl_add_u32 v3, v5, 3, v0
	v_mov_b32_e32 v0, s11
	v_add3_u32 v12, v12, v4, v6
	v_lshlrev_b64 v[11:12], 3, v[11:12]
	v_mov_b32_e32 v6, 0
	v_add_co_u32_e32 v4, vcc, s10, v11
	v_addc_co_u32_e32 v11, vcc, v0, v12, vcc
	v_lshlrev_b64 v[0:1], 3, v[1:2]
	ds_read2_b64 v[7:10], v3 offset1:20
	v_add_co_u32_e32 v0, vcc, v4, v0
	v_addc_co_u32_e32 v1, vcc, v11, v1, vcc
	v_lshlrev_b64 v[11:12], 3, v[5:6]
	v_add_co_u32_e32 v11, vcc, v0, v11
	v_addc_co_u32_e32 v12, vcc, v1, v12, vcc
	s_waitcnt lgkmcnt(0)
	global_store_dwordx2 v[11:12], v[7:8], off
	v_add_u32_e32 v7, 20, v5
	v_mov_b32_e32 v8, v6
	v_lshlrev_b64 v[7:8], 3, v[7:8]
	v_add_u32_e32 v11, 40, v5
	v_add_co_u32_e32 v7, vcc, v0, v7
	v_addc_co_u32_e32 v8, vcc, v1, v8, vcc
	global_store_dwordx2 v[7:8], v[9:10], off
	v_mov_b32_e32 v12, v6
	ds_read2_b64 v[7:10], v3 offset0:40 offset1:60
	v_lshlrev_b64 v[11:12], 3, v[11:12]
	v_add_co_u32_e32 v11, vcc, v0, v11
	v_addc_co_u32_e32 v12, vcc, v1, v12, vcc
	s_waitcnt lgkmcnt(0)
	global_store_dwordx2 v[11:12], v[7:8], off
	v_add_u32_e32 v7, 60, v5
	v_mov_b32_e32 v8, v6
	v_lshlrev_b64 v[7:8], 3, v[7:8]
	v_add_u32_e32 v11, 0x50, v5
	v_add_co_u32_e32 v7, vcc, v0, v7
	v_addc_co_u32_e32 v8, vcc, v1, v8, vcc
	global_store_dwordx2 v[7:8], v[9:10], off
	v_mov_b32_e32 v12, v6
	ds_read2_b64 v[7:10], v3 offset0:80 offset1:100
	;; [unrolled: 14-line block ×4, first 2 shown]
	v_lshlrev_b64 v[11:12], 3, v[11:12]
	v_add_co_u32_e32 v11, vcc, v0, v11
	v_addc_co_u32_e32 v12, vcc, v1, v12, vcc
	s_waitcnt lgkmcnt(0)
	global_store_dwordx2 v[11:12], v[7:8], off
	v_add_u32_e32 v7, 0xb4, v5
	v_mov_b32_e32 v8, v6
	v_lshlrev_b64 v[6:7], 3, v[7:8]
	v_add_co_u32_e32 v6, vcc, v0, v6
	v_addc_co_u32_e32 v7, vcc, v1, v7, vcc
	v_cmp_eq_u32_e32 vcc, 19, v5
	global_store_dwordx2 v[6:7], v[9:10], off
	s_and_b64 exec, exec, vcc
	s_cbranch_execz .LBB0_19
; %bb.18:
	ds_read_b64 v[2:3], v3 offset:1448
	s_waitcnt lgkmcnt(0)
	global_store_dwordx2 v[0:1], v[2:3], off offset:1600
.LBB0_19:
	s_endpgm
	.section	.rodata,"a",@progbits
	.p2align	6, 0x0
	.amdhsa_kernel fft_rtc_fwd_len200_factors_10_10_2_wgs_60_tpt_20_halfLds_sp_op_CI_CI_unitstride_sbrr_R2C_dirReg
		.amdhsa_group_segment_fixed_size 0
		.amdhsa_private_segment_fixed_size 0
		.amdhsa_kernarg_size 104
		.amdhsa_user_sgpr_count 6
		.amdhsa_user_sgpr_private_segment_buffer 1
		.amdhsa_user_sgpr_dispatch_ptr 0
		.amdhsa_user_sgpr_queue_ptr 0
		.amdhsa_user_sgpr_kernarg_segment_ptr 1
		.amdhsa_user_sgpr_dispatch_id 0
		.amdhsa_user_sgpr_flat_scratch_init 0
		.amdhsa_user_sgpr_private_segment_size 0
		.amdhsa_uses_dynamic_stack 0
		.amdhsa_system_sgpr_private_segment_wavefront_offset 0
		.amdhsa_system_sgpr_workgroup_id_x 1
		.amdhsa_system_sgpr_workgroup_id_y 0
		.amdhsa_system_sgpr_workgroup_id_z 0
		.amdhsa_system_sgpr_workgroup_info 0
		.amdhsa_system_vgpr_workitem_id 0
		.amdhsa_next_free_vgpr 72
		.amdhsa_next_free_sgpr 28
		.amdhsa_reserve_vcc 1
		.amdhsa_reserve_flat_scratch 0
		.amdhsa_float_round_mode_32 0
		.amdhsa_float_round_mode_16_64 0
		.amdhsa_float_denorm_mode_32 3
		.amdhsa_float_denorm_mode_16_64 3
		.amdhsa_dx10_clamp 1
		.amdhsa_ieee_mode 1
		.amdhsa_fp16_overflow 0
		.amdhsa_exception_fp_ieee_invalid_op 0
		.amdhsa_exception_fp_denorm_src 0
		.amdhsa_exception_fp_ieee_div_zero 0
		.amdhsa_exception_fp_ieee_overflow 0
		.amdhsa_exception_fp_ieee_underflow 0
		.amdhsa_exception_fp_ieee_inexact 0
		.amdhsa_exception_int_div_zero 0
	.end_amdhsa_kernel
	.text
.Lfunc_end0:
	.size	fft_rtc_fwd_len200_factors_10_10_2_wgs_60_tpt_20_halfLds_sp_op_CI_CI_unitstride_sbrr_R2C_dirReg, .Lfunc_end0-fft_rtc_fwd_len200_factors_10_10_2_wgs_60_tpt_20_halfLds_sp_op_CI_CI_unitstride_sbrr_R2C_dirReg
                                        ; -- End function
	.section	.AMDGPU.csdata,"",@progbits
; Kernel info:
; codeLenInByte = 5940
; NumSgprs: 32
; NumVgprs: 72
; ScratchSize: 0
; MemoryBound: 0
; FloatMode: 240
; IeeeMode: 1
; LDSByteSize: 0 bytes/workgroup (compile time only)
; SGPRBlocks: 3
; VGPRBlocks: 17
; NumSGPRsForWavesPerEU: 32
; NumVGPRsForWavesPerEU: 72
; Occupancy: 3
; WaveLimiterHint : 1
; COMPUTE_PGM_RSRC2:SCRATCH_EN: 0
; COMPUTE_PGM_RSRC2:USER_SGPR: 6
; COMPUTE_PGM_RSRC2:TRAP_HANDLER: 0
; COMPUTE_PGM_RSRC2:TGID_X_EN: 1
; COMPUTE_PGM_RSRC2:TGID_Y_EN: 0
; COMPUTE_PGM_RSRC2:TGID_Z_EN: 0
; COMPUTE_PGM_RSRC2:TIDIG_COMP_CNT: 0
	.type	__hip_cuid_273680b9dbc18443,@object ; @__hip_cuid_273680b9dbc18443
	.section	.bss,"aw",@nobits
	.globl	__hip_cuid_273680b9dbc18443
__hip_cuid_273680b9dbc18443:
	.byte	0                               ; 0x0
	.size	__hip_cuid_273680b9dbc18443, 1

	.ident	"AMD clang version 19.0.0git (https://github.com/RadeonOpenCompute/llvm-project roc-6.4.0 25133 c7fe45cf4b819c5991fe208aaa96edf142730f1d)"
	.section	".note.GNU-stack","",@progbits
	.addrsig
	.addrsig_sym __hip_cuid_273680b9dbc18443
	.amdgpu_metadata
---
amdhsa.kernels:
  - .args:
      - .actual_access:  read_only
        .address_space:  global
        .offset:         0
        .size:           8
        .value_kind:     global_buffer
      - .offset:         8
        .size:           8
        .value_kind:     by_value
      - .actual_access:  read_only
        .address_space:  global
        .offset:         16
        .size:           8
        .value_kind:     global_buffer
      - .actual_access:  read_only
        .address_space:  global
        .offset:         24
        .size:           8
        .value_kind:     global_buffer
      - .actual_access:  read_only
        .address_space:  global
        .offset:         32
        .size:           8
        .value_kind:     global_buffer
      - .offset:         40
        .size:           8
        .value_kind:     by_value
      - .actual_access:  read_only
        .address_space:  global
        .offset:         48
        .size:           8
        .value_kind:     global_buffer
      - .actual_access:  read_only
        .address_space:  global
        .offset:         56
        .size:           8
        .value_kind:     global_buffer
      - .offset:         64
        .size:           4
        .value_kind:     by_value
      - .actual_access:  read_only
        .address_space:  global
        .offset:         72
        .size:           8
        .value_kind:     global_buffer
      - .actual_access:  read_only
        .address_space:  global
        .offset:         80
        .size:           8
        .value_kind:     global_buffer
      - .actual_access:  read_only
        .address_space:  global
        .offset:         88
        .size:           8
        .value_kind:     global_buffer
      - .actual_access:  write_only
        .address_space:  global
        .offset:         96
        .size:           8
        .value_kind:     global_buffer
    .group_segment_fixed_size: 0
    .kernarg_segment_align: 8
    .kernarg_segment_size: 104
    .language:       OpenCL C
    .language_version:
      - 2
      - 0
    .max_flat_workgroup_size: 60
    .name:           fft_rtc_fwd_len200_factors_10_10_2_wgs_60_tpt_20_halfLds_sp_op_CI_CI_unitstride_sbrr_R2C_dirReg
    .private_segment_fixed_size: 0
    .sgpr_count:     32
    .sgpr_spill_count: 0
    .symbol:         fft_rtc_fwd_len200_factors_10_10_2_wgs_60_tpt_20_halfLds_sp_op_CI_CI_unitstride_sbrr_R2C_dirReg.kd
    .uniform_work_group_size: 1
    .uses_dynamic_stack: false
    .vgpr_count:     72
    .vgpr_spill_count: 0
    .wavefront_size: 64
amdhsa.target:   amdgcn-amd-amdhsa--gfx906
amdhsa.version:
  - 1
  - 2
...

	.end_amdgpu_metadata
